;; amdgpu-corpus repo=ROCm/rocFFT kind=compiled arch=gfx906 opt=O3
	.text
	.amdgcn_target "amdgcn-amd-amdhsa--gfx906"
	.amdhsa_code_object_version 6
	.protected	fft_rtc_back_len1040_factors_13_16_5_wgs_208_tpt_208_halfLds_dp_op_CI_CI_unitstride_sbrr_dirReg ; -- Begin function fft_rtc_back_len1040_factors_13_16_5_wgs_208_tpt_208_halfLds_dp_op_CI_CI_unitstride_sbrr_dirReg
	.globl	fft_rtc_back_len1040_factors_13_16_5_wgs_208_tpt_208_halfLds_dp_op_CI_CI_unitstride_sbrr_dirReg
	.p2align	8
	.type	fft_rtc_back_len1040_factors_13_16_5_wgs_208_tpt_208_halfLds_dp_op_CI_CI_unitstride_sbrr_dirReg,@function
fft_rtc_back_len1040_factors_13_16_5_wgs_208_tpt_208_halfLds_dp_op_CI_CI_unitstride_sbrr_dirReg: ; @fft_rtc_back_len1040_factors_13_16_5_wgs_208_tpt_208_halfLds_dp_op_CI_CI_unitstride_sbrr_dirReg
; %bb.0:
	s_load_dwordx4 s[8:11], s[4:5], 0x58
	s_load_dwordx4 s[12:15], s[4:5], 0x0
	;; [unrolled: 1-line block ×3, first 2 shown]
	v_mul_u32_u24_e32 v1, 0x13c, v0
	v_add_u32_sdwa v3, s6, v1 dst_sel:DWORD dst_unused:UNUSED_PAD src0_sel:DWORD src1_sel:WORD_1
	v_mov_b32_e32 v1, 0
	s_waitcnt lgkmcnt(0)
	v_cmp_lt_u64_e64 s[0:1], s[14:15], 2
	v_mov_b32_e32 v24, 0
	v_mov_b32_e32 v4, v1
	s_and_b64 vcc, exec, s[0:1]
	v_mov_b32_e32 v25, 0
	s_cbranch_vccnz .LBB0_8
; %bb.1:
	s_load_dwordx2 s[0:1], s[4:5], 0x10
	s_add_u32 s2, s18, 8
	s_addc_u32 s3, s19, 0
	s_add_u32 s6, s16, 8
	v_mov_b32_e32 v24, 0
	s_addc_u32 s7, s17, 0
	v_mov_b32_e32 v25, 0
	s_waitcnt lgkmcnt(0)
	s_add_u32 s20, s0, 8
	v_mov_b32_e32 v85, v25
	s_addc_u32 s21, s1, 0
	s_mov_b64 s[22:23], 1
	v_mov_b32_e32 v84, v24
.LBB0_2:                                ; =>This Inner Loop Header: Depth=1
	s_load_dwordx2 s[24:25], s[20:21], 0x0
                                        ; implicit-def: $vgpr86_vgpr87
	s_waitcnt lgkmcnt(0)
	v_or_b32_e32 v2, s25, v4
	v_cmp_ne_u64_e32 vcc, 0, v[1:2]
	s_and_saveexec_b64 s[0:1], vcc
	s_xor_b64 s[26:27], exec, s[0:1]
	s_cbranch_execz .LBB0_4
; %bb.3:                                ;   in Loop: Header=BB0_2 Depth=1
	v_cvt_f32_u32_e32 v2, s24
	v_cvt_f32_u32_e32 v5, s25
	s_sub_u32 s0, 0, s24
	s_subb_u32 s1, 0, s25
	v_mac_f32_e32 v2, 0x4f800000, v5
	v_rcp_f32_e32 v2, v2
	v_mul_f32_e32 v2, 0x5f7ffffc, v2
	v_mul_f32_e32 v5, 0x2f800000, v2
	v_trunc_f32_e32 v5, v5
	v_mac_f32_e32 v2, 0xcf800000, v5
	v_cvt_u32_f32_e32 v5, v5
	v_cvt_u32_f32_e32 v2, v2
	v_mul_lo_u32 v6, s0, v5
	v_mul_hi_u32 v7, s0, v2
	v_mul_lo_u32 v9, s1, v2
	v_mul_lo_u32 v8, s0, v2
	v_add_u32_e32 v6, v7, v6
	v_add_u32_e32 v6, v6, v9
	v_mul_hi_u32 v7, v2, v8
	v_mul_lo_u32 v9, v2, v6
	v_mul_hi_u32 v11, v2, v6
	v_mul_hi_u32 v10, v5, v8
	v_mul_lo_u32 v8, v5, v8
	v_mul_hi_u32 v12, v5, v6
	v_add_co_u32_e32 v7, vcc, v7, v9
	v_addc_co_u32_e32 v9, vcc, 0, v11, vcc
	v_mul_lo_u32 v6, v5, v6
	v_add_co_u32_e32 v7, vcc, v7, v8
	v_addc_co_u32_e32 v7, vcc, v9, v10, vcc
	v_addc_co_u32_e32 v8, vcc, 0, v12, vcc
	v_add_co_u32_e32 v6, vcc, v7, v6
	v_addc_co_u32_e32 v7, vcc, 0, v8, vcc
	v_add_co_u32_e32 v2, vcc, v2, v6
	v_addc_co_u32_e32 v5, vcc, v5, v7, vcc
	v_mul_lo_u32 v6, s0, v5
	v_mul_hi_u32 v7, s0, v2
	v_mul_lo_u32 v8, s1, v2
	v_mul_lo_u32 v9, s0, v2
	v_add_u32_e32 v6, v7, v6
	v_add_u32_e32 v6, v6, v8
	v_mul_lo_u32 v10, v2, v6
	v_mul_hi_u32 v11, v2, v9
	v_mul_hi_u32 v12, v2, v6
	v_mul_hi_u32 v8, v5, v9
	v_mul_lo_u32 v9, v5, v9
	v_mul_hi_u32 v7, v5, v6
	v_add_co_u32_e32 v10, vcc, v11, v10
	v_addc_co_u32_e32 v11, vcc, 0, v12, vcc
	v_mul_lo_u32 v6, v5, v6
	v_add_co_u32_e32 v9, vcc, v10, v9
	v_addc_co_u32_e32 v8, vcc, v11, v8, vcc
	v_addc_co_u32_e32 v7, vcc, 0, v7, vcc
	v_add_co_u32_e32 v6, vcc, v8, v6
	v_addc_co_u32_e32 v7, vcc, 0, v7, vcc
	v_add_co_u32_e32 v2, vcc, v2, v6
	v_addc_co_u32_e32 v7, vcc, v5, v7, vcc
	v_mad_u64_u32 v[5:6], s[0:1], v3, v7, 0
	v_mul_hi_u32 v8, v3, v2
	v_add_co_u32_e32 v9, vcc, v8, v5
	v_addc_co_u32_e32 v10, vcc, 0, v6, vcc
	v_mad_u64_u32 v[5:6], s[0:1], v4, v2, 0
	v_mad_u64_u32 v[7:8], s[0:1], v4, v7, 0
	v_add_co_u32_e32 v2, vcc, v9, v5
	v_addc_co_u32_e32 v2, vcc, v10, v6, vcc
	v_addc_co_u32_e32 v5, vcc, 0, v8, vcc
	v_add_co_u32_e32 v2, vcc, v2, v7
	v_addc_co_u32_e32 v7, vcc, 0, v5, vcc
	v_mul_lo_u32 v8, s25, v2
	v_mul_lo_u32 v9, s24, v7
	v_mad_u64_u32 v[5:6], s[0:1], s24, v2, 0
	v_add3_u32 v6, v6, v9, v8
	v_sub_u32_e32 v8, v4, v6
	v_mov_b32_e32 v9, s25
	v_sub_co_u32_e32 v5, vcc, v3, v5
	v_subb_co_u32_e64 v8, s[0:1], v8, v9, vcc
	v_subrev_co_u32_e64 v9, s[0:1], s24, v5
	v_subbrev_co_u32_e64 v8, s[0:1], 0, v8, s[0:1]
	v_cmp_le_u32_e64 s[0:1], s25, v8
	v_cndmask_b32_e64 v10, 0, -1, s[0:1]
	v_cmp_le_u32_e64 s[0:1], s24, v9
	v_cndmask_b32_e64 v9, 0, -1, s[0:1]
	v_cmp_eq_u32_e64 s[0:1], s25, v8
	v_cndmask_b32_e64 v8, v10, v9, s[0:1]
	v_add_co_u32_e64 v9, s[0:1], 2, v2
	v_addc_co_u32_e64 v10, s[0:1], 0, v7, s[0:1]
	v_add_co_u32_e64 v11, s[0:1], 1, v2
	v_addc_co_u32_e64 v12, s[0:1], 0, v7, s[0:1]
	v_subb_co_u32_e32 v6, vcc, v4, v6, vcc
	v_cmp_ne_u32_e64 s[0:1], 0, v8
	v_cmp_le_u32_e32 vcc, s25, v6
	v_cndmask_b32_e64 v8, v12, v10, s[0:1]
	v_cndmask_b32_e64 v10, 0, -1, vcc
	v_cmp_le_u32_e32 vcc, s24, v5
	v_cndmask_b32_e64 v5, 0, -1, vcc
	v_cmp_eq_u32_e32 vcc, s25, v6
	v_cndmask_b32_e32 v5, v10, v5, vcc
	v_cmp_ne_u32_e32 vcc, 0, v5
	v_cndmask_b32_e64 v5, v11, v9, s[0:1]
	v_cndmask_b32_e32 v87, v7, v8, vcc
	v_cndmask_b32_e32 v86, v2, v5, vcc
.LBB0_4:                                ;   in Loop: Header=BB0_2 Depth=1
	s_andn2_saveexec_b64 s[0:1], s[26:27]
	s_cbranch_execz .LBB0_6
; %bb.5:                                ;   in Loop: Header=BB0_2 Depth=1
	v_cvt_f32_u32_e32 v2, s24
	s_sub_i32 s26, 0, s24
	v_mov_b32_e32 v87, v1
	v_rcp_iflag_f32_e32 v2, v2
	v_mul_f32_e32 v2, 0x4f7ffffe, v2
	v_cvt_u32_f32_e32 v2, v2
	v_mul_lo_u32 v5, s26, v2
	v_mul_hi_u32 v5, v2, v5
	v_add_u32_e32 v2, v2, v5
	v_mul_hi_u32 v2, v3, v2
	v_mul_lo_u32 v5, v2, s24
	v_add_u32_e32 v6, 1, v2
	v_sub_u32_e32 v5, v3, v5
	v_subrev_u32_e32 v7, s24, v5
	v_cmp_le_u32_e32 vcc, s24, v5
	v_cndmask_b32_e32 v5, v5, v7, vcc
	v_cndmask_b32_e32 v2, v2, v6, vcc
	v_add_u32_e32 v6, 1, v2
	v_cmp_le_u32_e32 vcc, s24, v5
	v_cndmask_b32_e32 v86, v2, v6, vcc
.LBB0_6:                                ;   in Loop: Header=BB0_2 Depth=1
	s_or_b64 exec, exec, s[0:1]
	v_mul_lo_u32 v2, v87, s24
	v_mul_lo_u32 v7, v86, s25
	v_mad_u64_u32 v[5:6], s[0:1], v86, s24, 0
	s_load_dwordx2 s[0:1], s[6:7], 0x0
	s_load_dwordx2 s[24:25], s[2:3], 0x0
	v_add3_u32 v2, v6, v7, v2
	v_sub_co_u32_e32 v3, vcc, v3, v5
	v_subb_co_u32_e32 v2, vcc, v4, v2, vcc
	s_waitcnt lgkmcnt(0)
	v_mul_lo_u32 v4, s0, v2
	v_mul_lo_u32 v5, s1, v3
	v_mad_u64_u32 v[24:25], s[0:1], s0, v3, v[24:25]
	v_mul_lo_u32 v2, s24, v2
	v_mul_lo_u32 v6, s25, v3
	v_mad_u64_u32 v[84:85], s[0:1], s24, v3, v[84:85]
	s_add_u32 s22, s22, 1
	s_addc_u32 s23, s23, 0
	s_add_u32 s2, s2, 8
	v_add3_u32 v85, v6, v85, v2
	s_addc_u32 s3, s3, 0
	v_mov_b32_e32 v2, s14
	s_add_u32 s6, s6, 8
	v_mov_b32_e32 v3, s15
	s_addc_u32 s7, s7, 0
	v_cmp_ge_u64_e32 vcc, s[22:23], v[2:3]
	s_add_u32 s20, s20, 8
	v_add3_u32 v25, v5, v25, v4
	s_addc_u32 s21, s21, 0
	s_cbranch_vccnz .LBB0_9
; %bb.7:                                ;   in Loop: Header=BB0_2 Depth=1
	v_mov_b32_e32 v3, v86
	v_mov_b32_e32 v4, v87
	s_branch .LBB0_2
.LBB0_8:
	v_mov_b32_e32 v85, v25
	v_mov_b32_e32 v87, v4
	;; [unrolled: 1-line block ×4, first 2 shown]
.LBB0_9:
	s_lshl_b64 s[14:15], s[14:15], 3
	s_load_dwordx2 s[0:1], s[4:5], 0x28
	s_add_u32 s2, s18, s14
	s_mov_b32 s3, 0x13b13b2
	v_mul_hi_u32 v1, v0, s3
	s_addc_u32 s3, s19, s15
	s_load_dwordx2 s[4:5], s[2:3], 0x0
	s_waitcnt lgkmcnt(0)
	v_cmp_gt_u64_e32 vcc, s[0:1], v[86:87]
	v_mul_u32_u24_e32 v1, 0xd0, v1
	v_sub_u32_e32 v88, v0, v1
	v_mov_b32_e32 v89, 0
                                        ; implicit-def: $vgpr66_vgpr67
                                        ; implicit-def: $vgpr38_vgpr39
                                        ; implicit-def: $vgpr22_vgpr23
                                        ; implicit-def: $vgpr30_vgpr31
                                        ; implicit-def: $vgpr10_vgpr11
                                        ; implicit-def: $vgpr6_vgpr7
                                        ; implicit-def: $vgpr14_vgpr15
                                        ; implicit-def: $vgpr42_vgpr43
                                        ; implicit-def: $vgpr58_vgpr59
                                        ; implicit-def: $vgpr62_vgpr63
                                        ; implicit-def: $vgpr34_vgpr35
                                        ; implicit-def: $vgpr2_vgpr3
                                        ; implicit-def: $vgpr18_vgpr19
	s_and_saveexec_b64 s[2:3], vcc
	s_cbranch_execz .LBB0_13
; %bb.10:
	s_movk_i32 s0, 0x50
	v_cmp_gt_u32_e64 s[0:1], s0, v88
                                        ; implicit-def: $vgpr16_vgpr17
                                        ; implicit-def: $vgpr0_vgpr1
                                        ; implicit-def: $vgpr32_vgpr33
                                        ; implicit-def: $vgpr60_vgpr61
                                        ; implicit-def: $vgpr56_vgpr57
                                        ; implicit-def: $vgpr40_vgpr41
                                        ; implicit-def: $vgpr12_vgpr13
                                        ; implicit-def: $vgpr4_vgpr5
                                        ; implicit-def: $vgpr8_vgpr9
                                        ; implicit-def: $vgpr28_vgpr29
                                        ; implicit-def: $vgpr20_vgpr21
                                        ; implicit-def: $vgpr36_vgpr37
                                        ; implicit-def: $vgpr64_vgpr65
	s_and_saveexec_b64 s[6:7], s[0:1]
	s_cbranch_execz .LBB0_12
; %bb.11:
	s_add_u32 s0, s16, s14
	s_addc_u32 s1, s17, s15
	s_load_dwordx2 s[0:1], s[0:1], 0x0
	v_mov_b32_e32 v4, s9
	v_mov_b32_e32 v89, 0
	s_waitcnt lgkmcnt(0)
	v_mul_lo_u32 v2, s1, v86
	v_mul_lo_u32 v3, s0, v87
	v_mad_u64_u32 v[0:1], s[0:1], s0, v86, 0
	v_add3_u32 v1, v1, v3, v2
	v_lshlrev_b64 v[0:1], 4, v[0:1]
	v_add_co_u32_e64 v2, s[0:1], s8, v0
	v_addc_co_u32_e64 v3, s[0:1], v4, v1, s[0:1]
	v_lshlrev_b64 v[0:1], 4, v[24:25]
	v_add_co_u32_e64 v4, s[0:1], v2, v0
	v_addc_co_u32_e64 v5, s[0:1], v3, v1, s[0:1]
	v_lshlrev_b64 v[0:1], 4, v[88:89]
	v_or_b32_e32 v2, 0x280, v88
	v_add_co_u32_e64 v0, s[0:1], v4, v0
	v_addc_co_u32_e64 v1, s[0:1], v5, v1, s[0:1]
	s_movk_i32 s0, 0x1000
	v_add_co_u32_e64 v24, s[0:1], s0, v0
	v_addc_co_u32_e64 v25, s[0:1], 0, v1, s[0:1]
	s_movk_i32 s0, 0x2000
	v_mov_b32_e32 v3, v89
	v_add_co_u32_e64 v26, s[0:1], s0, v0
	v_lshlrev_b64 v[2:3], 4, v[2:3]
	v_addc_co_u32_e64 v27, s[0:1], 0, v1, s[0:1]
	v_add_co_u32_e64 v44, s[0:1], v4, v2
	v_addc_co_u32_e64 v45, s[0:1], v5, v3, s[0:1]
	s_movk_i32 s0, 0x3000
	v_add_co_u32_e64 v46, s[0:1], s0, v0
	global_load_dwordx4 v[16:19], v[0:1], off
	global_load_dwordx4 v[64:67], v[0:1], off offset:1280
	global_load_dwordx4 v[36:39], v[0:1], off offset:2560
	;; [unrolled: 1-line block ×3, first 2 shown]
	v_addc_co_u32_e64 v47, s[0:1], 0, v1, s[0:1]
	global_load_dwordx4 v[28:31], v[24:25], off offset:1024
	global_load_dwordx4 v[8:11], v[24:25], off offset:2304
	;; [unrolled: 1-line block ×4, first 2 shown]
	global_load_dwordx4 v[12:15], v[44:45], off
	global_load_dwordx4 v[32:35], v[26:27], off offset:3328
	global_load_dwordx4 v[40:43], v[46:47], off offset:512
	;; [unrolled: 1-line block ×4, first 2 shown]
.LBB0_12:
	s_or_b64 exec, exec, s[6:7]
	v_mov_b32_e32 v89, v88
.LBB0_13:
	s_or_b64 exec, exec, s[2:3]
	s_waitcnt vmcnt(0)
	v_add_f64 v[26:27], v[66:67], -v[62:63]
	s_mov_b32 s0, 0x42a4c3d2
	s_mov_b32 s1, 0xbfea55e2
	v_add_f64 v[24:25], v[64:65], v[60:61]
	v_add_f64 v[52:53], v[38:39], -v[58:59]
	s_mov_b32 s18, 0x66966769
	s_mov_b32 s2, 0x1ea71119
	;; [unrolled: 1-line block ×3, first 2 shown]
	v_mul_f64 v[44:45], v[26:27], s[0:1]
	s_mov_b32 s14, 0x2ef20147
	s_mov_b32 s3, 0x3fe22d96
	v_mul_f64 v[46:47], v[26:27], s[18:19]
	s_mov_b32 s15, 0xbfedeba7
	v_add_f64 v[54:55], v[36:37], v[56:57]
	v_mul_f64 v[48:49], v[52:53], s[14:15]
	s_mov_b32 s6, 0xebaa3ed8
	v_fma_f64 v[50:51], v[24:25], s[2:3], v[44:45]
	s_mov_b32 s8, 0x4bc48dbf
	s_mov_b32 s7, 0x3fbedb7d
	;; [unrolled: 1-line block ×4, first 2 shown]
	v_fma_f64 v[68:69], v[24:25], s[6:7], v[46:47]
	v_mul_f64 v[70:71], v[52:53], s[8:9]
	s_mov_b32 s17, 0xbfd6b1d8
	v_add_f64 v[72:73], v[22:23], -v[42:43]
	v_fma_f64 v[74:75], v[54:55], s[16:17], v[48:49]
	v_add_f64 v[50:51], v[50:51], v[16:17]
	s_mov_b32 s20, 0x93053d00
	s_mov_b32 s21, 0xbfef11f4
	;; [unrolled: 1-line block ×4, first 2 shown]
	v_add_f64 v[68:69], v[68:69], v[16:17]
	v_fma_f64 v[76:77], v[54:55], s[20:21], v[70:71]
	v_add_f64 v[78:79], v[20:21], v[40:41]
	v_mul_f64 v[82:83], v[72:73], s[22:23]
	v_mul_f64 v[80:81], v[72:73], s[8:9]
	v_add_f64 v[50:51], v[74:75], v[50:51]
	v_add_f64 v[74:75], v[30:31], -v[34:35]
	s_mov_b32 s22, 0x24c2f84
	s_mov_b32 s23, 0xbfe5384d
	v_add_f64 v[68:69], v[76:77], v[68:69]
	s_mov_b32 s35, 0x3fe5384d
	v_fma_f64 v[90:91], v[78:79], s[16:17], v[82:83]
	s_mov_b32 s34, s22
	v_fma_f64 v[76:77], v[78:79], s[20:21], v[80:81]
	v_add_f64 v[92:93], v[28:29], v[32:33]
	v_mul_f64 v[94:95], v[74:75], s[34:35]
	v_add_f64 v[98:99], v[10:11], -v[14:15]
	s_mov_b32 s24, 0xd0032e0c
	s_mov_b32 s27, 0xbfddbe06
	;; [unrolled: 1-line block ×3, first 2 shown]
	v_add_f64 v[68:69], v[90:91], v[68:69]
	s_mov_b32 s25, 0xbfe7f3cc
	v_mul_f64 v[90:91], v[26:27], s[26:27]
	s_mov_b32 s27, 0x3fddbe06
	s_mov_b32 s29, 0x3fefc445
	;; [unrolled: 1-line block ×3, first 2 shown]
	v_add_f64 v[50:51], v[76:77], v[50:51]
	v_fma_f64 v[76:77], v[92:93], s[24:25], v[94:95]
	v_mul_f64 v[96:97], v[74:75], s[26:27]
	v_add_f64 v[100:101], v[8:9], v[12:13]
	v_mul_f64 v[102:103], v[98:99], s[28:29]
	s_mov_b32 s30, 0xe00740e9
	s_mov_b32 s31, 0x3fec55a7
	v_fma_f64 v[44:45], v[24:25], s[2:3], -v[44:45]
	v_fma_f64 v[46:47], v[24:25], s[6:7], -v[46:47]
	v_add_f64 v[50:51], v[76:77], v[50:51]
	v_fma_f64 v[104:105], v[92:93], s[30:31], v[96:97]
	v_mul_f64 v[106:107], v[98:99], s[0:1]
	v_fma_f64 v[76:77], v[100:101], s[6:7], v[102:103]
	v_fma_f64 v[48:49], v[54:55], s[16:17], -v[48:49]
	v_fma_f64 v[70:71], v[54:55], s[20:21], -v[70:71]
	v_add_f64 v[44:45], v[44:45], v[16:17]
	v_add_f64 v[46:47], v[46:47], v[16:17]
	v_mul_f64 v[110:111], v[26:27], s[14:15]
	v_add_f64 v[68:69], v[104:105], v[68:69]
	v_add_f64 v[104:105], v[2:3], -v[6:7]
	v_add_f64 v[50:51], v[76:77], v[50:51]
	v_fma_f64 v[76:77], v[100:101], s[2:3], v[106:107]
	v_mul_f64 v[112:113], v[52:53], s[34:35]
	v_add_f64 v[44:45], v[48:49], v[44:45]
	v_add_f64 v[46:47], v[70:71], v[46:47]
	v_fma_f64 v[48:49], v[78:79], s[20:21], -v[80:81]
	v_fma_f64 v[70:71], v[78:79], s[16:17], -v[82:83]
	v_add_f64 v[80:81], v[4:5], v[0:1]
	v_mul_f64 v[82:83], v[104:105], s[26:27]
	v_mul_f64 v[108:109], v[104:105], s[22:23]
	v_add_f64 v[68:69], v[76:77], v[68:69]
	v_mul_f64 v[76:77], v[26:27], s[22:23]
	v_mul_f64 v[118:119], v[52:53], s[28:29]
	v_add_f64 v[44:45], v[48:49], v[44:45]
	v_add_f64 v[46:47], v[70:71], v[46:47]
	v_fma_f64 v[48:49], v[92:93], s[24:25], -v[94:95]
	v_fma_f64 v[70:71], v[92:93], s[30:31], -v[96:97]
	v_fma_f64 v[94:95], v[80:81], s[30:31], v[82:83]
	v_fma_f64 v[96:97], v[24:25], s[16:17], v[110:111]
	;; [unrolled: 1-line block ×4, first 2 shown]
	v_fma_f64 v[102:103], v[100:101], s[6:7], -v[102:103]
	v_fma_f64 v[120:121], v[54:55], s[24:25], v[112:113]
	v_add_f64 v[48:49], v[48:49], v[44:45]
	v_add_f64 v[70:71], v[70:71], v[46:47]
	v_mul_f64 v[122:123], v[72:73], s[26:27]
	v_add_f64 v[96:97], v[96:97], v[16:17]
	v_fma_f64 v[106:107], v[100:101], s[2:3], -v[106:107]
	v_add_f64 v[44:45], v[94:95], v[50:51]
	v_add_f64 v[46:47], v[114:115], v[68:69]
	;; [unrolled: 1-line block ×3, first 2 shown]
	v_fma_f64 v[68:69], v[54:55], s[6:7], v[118:119]
	v_add_f64 v[48:49], v[102:103], v[48:49]
	v_mul_f64 v[102:103], v[72:73], s[0:1]
	v_add_f64 v[94:95], v[120:121], v[96:97]
	v_fma_f64 v[96:97], v[78:79], s[30:31], v[122:123]
	v_add_f64 v[70:71], v[106:107], v[70:71]
	v_fma_f64 v[106:107], v[80:81], s[24:25], -v[108:109]
	v_mul_f64 v[108:109], v[74:75], s[18:19]
	v_add_f64 v[68:69], v[68:69], v[50:51]
	v_fma_f64 v[50:51], v[24:25], s[16:17], -v[110:111]
	v_fma_f64 v[76:77], v[24:25], s[24:25], -v[76:77]
	s_mov_b32 s35, 0x3fcea1e5
	s_mov_b32 s34, s8
	v_fma_f64 v[82:83], v[80:81], s[30:31], -v[82:83]
	v_add_f64 v[94:95], v[96:97], v[94:95]
	v_fma_f64 v[96:97], v[78:79], s[2:3], v[102:103]
	v_mul_f64 v[110:111], v[74:75], s[34:35]
	v_fma_f64 v[114:115], v[92:93], s[6:7], v[108:109]
	v_add_f64 v[116:117], v[50:51], v[16:17]
	v_fma_f64 v[112:113], v[54:55], s[24:25], -v[112:113]
	v_add_f64 v[76:77], v[76:77], v[16:17]
	v_fma_f64 v[118:119], v[54:55], s[6:7], -v[118:119]
	v_add_f64 v[50:51], v[82:83], v[48:49]
	v_add_f64 v[68:69], v[96:97], v[68:69]
	v_fma_f64 v[82:83], v[92:93], s[20:21], v[110:111]
	v_mul_f64 v[96:97], v[98:99], s[34:35]
	v_add_f64 v[48:49], v[106:107], v[70:71]
	v_add_f64 v[70:71], v[114:115], v[94:95]
	;; [unrolled: 1-line block ×4, first 2 shown]
	v_fma_f64 v[106:107], v[78:79], s[30:31], -v[122:123]
	v_fma_f64 v[102:103], v[78:79], s[2:3], -v[102:103]
	s_mov_b32 s35, 0x3fea55e2
	s_mov_b32 s34, s0
	v_add_f64 v[68:69], v[82:83], v[68:69]
	v_fma_f64 v[82:83], v[100:101], s[20:21], v[96:97]
	v_mul_f64 v[112:113], v[98:99], s[26:27]
	v_mul_f64 v[114:115], v[104:105], s[34:35]
	v_add_f64 v[94:95], v[106:107], v[94:95]
	v_add_f64 v[76:77], v[102:103], v[76:77]
	v_fma_f64 v[102:103], v[92:93], s[6:7], -v[108:109]
	v_add_f64 v[106:107], v[64:65], v[16:17]
	v_fma_f64 v[108:109], v[92:93], s[20:21], -v[110:111]
	v_mul_f64 v[26:27], v[26:27], s[8:9]
	v_add_f64 v[70:71], v[82:83], v[70:71]
	v_fma_f64 v[82:83], v[100:101], s[30:31], v[112:113]
	v_fma_f64 v[110:111], v[80:81], s[2:3], v[114:115]
	v_fma_f64 v[96:97], v[100:101], s[20:21], -v[96:97]
	v_add_f64 v[94:95], v[102:103], v[94:95]
	v_add_f64 v[102:103], v[36:37], v[106:107]
	;; [unrolled: 1-line block ×3, first 2 shown]
	v_fma_f64 v[106:107], v[24:25], s[20:21], v[26:27]
	v_mul_f64 v[108:109], v[52:53], s[26:27]
	v_add_f64 v[82:83], v[82:83], v[68:69]
	v_add_f64 v[68:69], v[110:111], v[70:71]
	v_fma_f64 v[26:27], v[24:25], s[20:21], -v[26:27]
	v_mul_f64 v[116:117], v[104:105], s[14:15]
	v_add_f64 v[70:71], v[20:21], v[102:103]
	v_fma_f64 v[112:113], v[100:101], s[30:31], -v[112:113]
	v_add_f64 v[106:107], v[106:107], v[16:17]
	v_fma_f64 v[110:111], v[54:55], s[30:31], v[108:109]
	v_add_f64 v[94:95], v[96:97], v[94:95]
	v_fma_f64 v[96:97], v[80:81], s[2:3], -v[114:115]
	v_mul_f64 v[114:115], v[72:73], s[22:23]
	v_mul_f64 v[52:53], v[52:53], s[0:1]
	v_add_f64 v[70:71], v[28:29], v[70:71]
	v_add_f64 v[26:27], v[26:27], v[16:17]
	v_fma_f64 v[102:103], v[80:81], s[16:17], v[116:117]
	v_add_f64 v[106:107], v[110:111], v[106:107]
	v_fma_f64 v[110:111], v[24:25], s[30:31], v[90:91]
	v_fma_f64 v[24:25], v[24:25], s[30:31], -v[90:91]
	v_add_f64 v[76:77], v[112:113], v[76:77]
	v_fma_f64 v[112:113], v[80:81], s[16:17], -v[116:117]
	v_add_f64 v[70:71], v[8:9], v[70:71]
	v_fma_f64 v[90:91], v[54:55], s[30:31], -v[108:109]
	v_fma_f64 v[108:109], v[78:79], s[24:25], v[114:115]
	v_mul_f64 v[116:117], v[74:75], s[34:35]
	v_add_f64 v[110:111], v[110:111], v[16:17]
	v_add_f64 v[16:17], v[24:25], v[16:17]
	v_fma_f64 v[118:119], v[54:55], s[2:3], v[52:53]
	v_fma_f64 v[52:53], v[54:55], s[2:3], -v[52:53]
	v_add_f64 v[24:25], v[0:1], v[70:71]
	v_mul_f64 v[54:55], v[72:73], s[18:19]
	v_add_f64 v[26:27], v[90:91], v[26:27]
	v_add_f64 v[70:71], v[108:109], v[106:107]
	v_fma_f64 v[72:73], v[78:79], s[24:25], -v[114:115]
	v_fma_f64 v[90:91], v[92:93], s[2:3], v[116:117]
	v_add_f64 v[106:107], v[118:119], v[110:111]
	v_add_f64 v[16:17], v[52:53], v[16:17]
	;; [unrolled: 1-line block ×3, first 2 shown]
	v_fma_f64 v[52:53], v[78:79], s[6:7], v[54:55]
	v_fma_f64 v[54:55], v[78:79], s[6:7], -v[54:55]
	v_mul_f64 v[74:75], v[74:75], s[14:15]
	v_add_f64 v[26:27], v[72:73], v[26:27]
	v_add_f64 v[70:71], v[90:91], v[70:71]
	v_fma_f64 v[72:73], v[92:93], s[2:3], -v[116:117]
	v_mul_f64 v[78:79], v[98:99], s[14:15]
	v_add_f64 v[24:25], v[12:13], v[24:25]
	v_add_f64 v[52:53], v[52:53], v[106:107]
	;; [unrolled: 1-line block ×3, first 2 shown]
	v_fma_f64 v[54:55], v[92:93], s[16:17], v[74:75]
	v_fma_f64 v[74:75], v[92:93], s[16:17], -v[74:75]
	v_mul_f64 v[90:91], v[98:99], s[22:23]
	v_add_f64 v[26:27], v[72:73], v[26:27]
	v_fma_f64 v[72:73], v[100:101], s[16:17], v[78:79]
	v_add_f64 v[24:25], v[32:33], v[24:25]
	v_fma_f64 v[78:79], v[100:101], s[16:17], -v[78:79]
	v_mul_f64 v[92:93], v[104:105], s[28:29]
	v_add_f64 v[52:53], v[54:55], v[52:53]
	v_add_f64 v[16:17], v[74:75], v[16:17]
	v_fma_f64 v[54:55], v[100:101], s[24:25], v[90:91]
	v_fma_f64 v[74:75], v[100:101], s[24:25], -v[90:91]
	v_mul_f64 v[90:91], v[104:105], s[8:9]
	v_add_f64 v[24:25], v[40:41], v[24:25]
	v_add_f64 v[72:73], v[72:73], v[70:71]
	;; [unrolled: 1-line block ×3, first 2 shown]
	v_fma_f64 v[98:99], v[80:81], s[6:7], v[92:93]
	v_fma_f64 v[92:93], v[80:81], s[6:7], -v[92:93]
	v_add_f64 v[52:53], v[54:55], v[52:53]
	v_add_f64 v[16:17], v[74:75], v[16:17]
	v_fma_f64 v[54:55], v[80:81], s[20:21], v[90:91]
	v_add_f64 v[74:75], v[56:57], v[24:25]
	v_fma_f64 v[80:81], v[80:81], s[20:21], -v[90:91]
	v_add_f64 v[70:71], v[102:103], v[82:83]
	v_add_f64 v[26:27], v[96:97], v[94:95]
	;; [unrolled: 1-line block ×8, first 2 shown]
	s_movk_i32 s0, 0x50
	v_cmp_gt_u32_e64 s[2:3], s0, v88
	s_and_saveexec_b64 s[0:1], s[2:3]
	s_cbranch_execz .LBB0_15
; %bb.14:
	s_movk_i32 s6, 0x68
	v_mad_u32_u24 v16, v88, s6, 0
	ds_write2_b64 v16, v[52:53], v[54:55] offset1:1
	ds_write2_b64 v16, v[44:45], v[46:47] offset0:2 offset1:3
	ds_write2_b64 v16, v[68:69], v[70:71] offset0:4 offset1:5
	;; [unrolled: 1-line block ×5, first 2 shown]
	ds_write_b64 v16, v[72:73] offset:96
.LBB0_15:
	s_or_b64 exec, exec, s[0:1]
	s_movk_i32 s0, 0x41
	v_cmp_gt_u32_e64 s[0:1], s0, v88
	v_lshl_add_u32 v90, v88, 3, 0
	s_waitcnt lgkmcnt(0)
	s_barrier
	s_waitcnt lgkmcnt(0)
                                        ; implicit-def: $vgpr80_vgpr81
	s_and_saveexec_b64 s[6:7], s[0:1]
	s_cbranch_execz .LBB0_17
; %bb.16:
	v_add_u32_e32 v16, 0x800, v90
	ds_read2_b64 v[52:55], v90 offset1:65
	ds_read2_b64 v[44:47], v90 offset0:130 offset1:195
	ds_read2_b64 v[68:71], v16 offset0:4 offset1:69
	ds_read2_b64 v[76:79], v16 offset0:134 offset1:199
	v_add_u32_e32 v16, 0x1000, v90
	ds_read2_b64 v[24:27], v16 offset0:8 offset1:73
	ds_read2_b64 v[48:51], v16 offset0:138 offset1:203
	v_add_u32_e32 v16, 0x1800, v90
	ds_read2_b64 v[72:75], v16 offset0:12 offset1:77
	ds_read2_b64 v[80:83], v16 offset0:142 offset1:207
.LBB0_17:
	s_or_b64 exec, exec, s[6:7]
	v_add_f64 v[16:17], v[66:67], v[18:19]
	v_add_f64 v[60:61], v[64:65], -v[60:61]
	s_mov_b32 s26, 0x42a4c3d2
	s_mov_b32 s27, 0xbfea55e2
	v_add_f64 v[66:67], v[66:67], v[62:63]
	v_add_f64 v[36:37], v[36:37], -v[56:57]
	s_mov_b32 s6, 0x1ea71119
	s_mov_b32 s36, 0x66966769
	v_add_f64 v[16:17], v[38:39], v[16:17]
	v_mul_f64 v[64:65], v[60:61], s[26:27]
	s_mov_b32 s20, 0x2ef20147
	s_mov_b32 s7, 0x3fe22d96
	;; [unrolled: 1-line block ×4, first 2 shown]
	v_add_f64 v[38:39], v[38:39], v[58:59]
	v_mul_f64 v[91:92], v[60:61], s[36:37]
	v_add_f64 v[16:17], v[22:23], v[16:17]
	v_mul_f64 v[93:94], v[60:61], s[20:21]
	v_mul_f64 v[99:100], v[36:37], s[20:21]
	v_fma_f64 v[109:110], v[66:67], s[6:7], -v[64:65]
	v_fma_f64 v[64:65], v[66:67], s[6:7], v[64:65]
	s_mov_b32 s14, 0xebaa3ed8
	s_mov_b32 s18, 0xb2365da1
	;; [unrolled: 1-line block ×3, first 2 shown]
	v_add_f64 v[16:17], v[30:31], v[16:17]
	s_mov_b32 s30, 0x4bc48dbf
	s_mov_b32 s17, 0xbfddbe06
	s_mov_b32 s16, 0x4267c47c
	s_mov_b32 s15, 0x3fbedb7d
	s_mov_b32 s19, 0xbfd6b1d8
	s_mov_b32 s25, 0xbfe5384d
	s_mov_b32 s31, 0xbfcea1e5
	v_add_f64 v[16:17], v[10:11], v[16:17]
	s_mov_b32 s39, 0x3fe5384d
	s_mov_b32 s38, s24
	v_mul_f64 v[56:57], v[60:61], s[16:17]
	v_mul_f64 v[95:96], v[60:61], s[24:25]
	;; [unrolled: 1-line block ×5, first 2 shown]
	v_add_f64 v[16:17], v[2:3], v[16:17]
	v_fma_f64 v[111:112], v[66:67], s[14:15], -v[91:92]
	v_fma_f64 v[91:92], v[66:67], s[14:15], v[91:92]
	v_fma_f64 v[113:114], v[66:67], s[18:19], -v[93:94]
	v_fma_f64 v[93:94], v[66:67], s[18:19], v[93:94]
	;; [unrolled: 2-line block ×3, first 2 shown]
	v_add_f64 v[64:65], v[64:65], v[18:19]
	v_add_f64 v[16:17], v[6:7], v[16:17]
	s_mov_b32 s8, 0xe00740e9
	s_mov_b32 s22, 0xd0032e0c
	;; [unrolled: 1-line block ×7, first 2 shown]
	v_add_f64 v[16:17], v[14:15], v[16:17]
	s_mov_b32 s34, s36
	s_mov_b32 s17, 0x3fddbe06
	v_mul_f64 v[97:98], v[36:37], s[26:27]
	v_mul_f64 v[105:106], v[36:37], s[34:35]
	v_fma_f64 v[107:108], v[66:67], s[8:9], -v[56:57]
	v_fma_f64 v[56:57], v[66:67], s[8:9], v[56:57]
	v_fma_f64 v[115:116], v[66:67], s[22:23], -v[95:96]
	v_add_f64 v[16:17], v[34:35], v[16:17]
	v_fma_f64 v[95:96], v[66:67], s[22:23], v[95:96]
	v_fma_f64 v[117:118], v[66:67], s[28:29], -v[60:61]
	v_fma_f64 v[60:61], v[66:67], s[28:29], v[60:61]
	v_add_f64 v[91:92], v[91:92], v[18:19]
	v_add_f64 v[93:94], v[93:94], v[18:19]
	;; [unrolled: 1-line block ×3, first 2 shown]
	v_add_f64 v[20:21], v[20:21], -v[40:41]
	v_add_f64 v[16:17], v[42:43], v[16:17]
	v_fma_f64 v[99:100], v[38:39], s[22:23], v[103:104]
	v_mul_f64 v[36:37], v[36:37], s[16:17]
	v_fma_f64 v[66:67], v[38:39], s[6:7], -v[97:98]
	v_fma_f64 v[97:98], v[38:39], s[6:7], v[97:98]
	v_add_f64 v[107:108], v[107:108], v[18:19]
	v_add_f64 v[56:57], v[56:57], v[18:19]
	v_add_f64 v[109:110], v[109:110], v[18:19]
	v_add_f64 v[16:17], v[58:59], v[16:17]
	v_add_f64 v[111:112], v[111:112], v[18:19]
	v_add_f64 v[113:114], v[113:114], v[18:19]
	v_add_f64 v[115:116], v[115:116], v[18:19]
	v_add_f64 v[95:96], v[95:96], v[18:19]
	v_add_f64 v[58:59], v[117:118], v[18:19]
	v_add_f64 v[18:19], v[60:61], v[18:19]
	v_fma_f64 v[40:41], v[38:39], s[22:23], -v[103:104]
	v_add_f64 v[16:17], v[62:63], v[16:17]
	v_fma_f64 v[62:63], v[38:39], s[28:29], v[101:102]
	v_fma_f64 v[103:104], v[38:39], s[14:15], v[105:106]
	v_add_f64 v[22:23], v[22:23], v[42:43]
	v_mul_f64 v[42:43], v[20:21], s[36:37]
	s_mov_b32 s41, 0x3fedeba7
	s_mov_b32 s40, s20
	v_fma_f64 v[121:122], v[38:39], s[28:29], -v[101:102]
	v_add_f64 v[60:61], v[66:67], v[107:108]
	v_add_f64 v[62:63], v[62:63], v[91:92]
	v_add_f64 v[91:92], v[99:100], v[93:94]
	v_fma_f64 v[99:100], v[38:39], s[8:9], -v[36:37]
	v_fma_f64 v[36:37], v[38:39], s[8:9], v[36:37]
	v_add_f64 v[56:57], v[97:98], v[56:57]
	v_fma_f64 v[101:102], v[38:39], s[14:15], -v[105:106]
	v_add_f64 v[95:96], v[103:104], v[95:96]
	v_fma_f64 v[38:39], v[22:23], s[14:15], -v[42:43]
	v_fma_f64 v[42:43], v[22:23], s[14:15], v[42:43]
	v_mul_f64 v[103:104], v[20:21], s[40:41]
	v_add_f64 v[28:29], v[28:29], -v[32:33]
	v_add_f64 v[18:19], v[36:37], v[18:19]
	v_mul_f64 v[36:37], v[20:21], s[16:17]
	v_add_f64 v[97:98], v[121:122], v[111:112]
	v_add_f64 v[93:94], v[101:102], v[115:116]
	v_mul_f64 v[101:102], v[20:21], s[30:31]
	v_add_f64 v[38:39], v[38:39], v[60:61]
	v_add_f64 v[42:43], v[42:43], v[56:57]
	v_fma_f64 v[56:57], v[22:23], s[18:19], -v[103:104]
	v_fma_f64 v[60:61], v[22:23], s[18:19], v[103:104]
	v_mul_f64 v[103:104], v[20:21], s[26:27]
	v_fma_f64 v[32:33], v[22:23], s[8:9], v[36:37]
	v_mul_f64 v[20:21], v[20:21], s[24:25]
	v_add_f64 v[30:31], v[30:31], v[34:35]
	v_mul_f64 v[34:35], v[28:29], s[20:21]
	v_add_f64 v[66:67], v[119:120], v[109:110]
	v_add_f64 v[58:59], v[99:100], v[58:59]
	v_fma_f64 v[99:100], v[22:23], s[28:29], -v[101:102]
	v_fma_f64 v[101:102], v[22:23], s[28:29], v[101:102]
	v_fma_f64 v[105:106], v[22:23], s[8:9], -v[36:37]
	v_add_f64 v[36:37], v[56:57], v[97:98]
	v_add_f64 v[56:57], v[60:61], v[62:63]
	v_fma_f64 v[60:61], v[22:23], s[6:7], -v[103:104]
	v_add_f64 v[32:33], v[32:33], v[91:92]
	v_fma_f64 v[62:63], v[22:23], s[6:7], v[103:104]
	v_mul_f64 v[91:92], v[28:29], s[38:39]
	v_fma_f64 v[97:98], v[22:23], s[22:23], -v[20:21]
	v_fma_f64 v[20:21], v[22:23], s[22:23], v[20:21]
	v_fma_f64 v[22:23], v[30:31], s[18:19], -v[34:35]
	v_fma_f64 v[34:35], v[30:31], s[18:19], v[34:35]
	v_add_f64 v[66:67], v[99:100], v[66:67]
	v_add_f64 v[64:65], v[101:102], v[64:65]
	;; [unrolled: 1-line block ×3, first 2 shown]
	v_mul_f64 v[93:94], v[28:29], s[16:17]
	v_add_f64 v[62:63], v[62:63], v[95:96]
	v_fma_f64 v[95:96], v[30:31], s[22:23], -v[91:92]
	v_fma_f64 v[91:92], v[30:31], s[22:23], v[91:92]
	v_add_f64 v[18:19], v[20:21], v[18:19]
	v_add_f64 v[20:21], v[22:23], v[38:39]
	;; [unrolled: 1-line block ×3, first 2 shown]
	v_mul_f64 v[34:35], v[28:29], s[36:37]
	s_mov_b32 s37, 0x3fcea1e5
	s_mov_b32 s36, s30
	;; [unrolled: 1-line block ×4, first 2 shown]
	v_add_f64 v[38:39], v[95:96], v[66:67]
	v_add_f64 v[42:43], v[91:92], v[64:65]
	v_fma_f64 v[64:65], v[30:31], s[8:9], v[93:94]
	v_mul_f64 v[66:67], v[28:29], s[36:37]
	v_add_f64 v[8:9], v[8:9], -v[12:13]
	v_fma_f64 v[12:13], v[30:31], s[14:15], v[34:35]
	v_mul_f64 v[28:29], v[28:29], s[38:39]
	v_add_f64 v[40:41], v[40:41], v[113:114]
	v_add_f64 v[58:59], v[97:98], v[58:59]
	v_fma_f64 v[91:92], v[30:31], s[14:15], -v[34:35]
	v_add_f64 v[34:35], v[64:65], v[56:57]
	v_fma_f64 v[56:57], v[30:31], s[28:29], -v[66:67]
	v_add_f64 v[10:11], v[10:11], v[14:15]
	v_mul_f64 v[14:15], v[8:9], s[24:25]
	v_fma_f64 v[64:65], v[30:31], s[28:29], v[66:67]
	v_add_f64 v[12:13], v[12:13], v[32:33]
	v_fma_f64 v[32:33], v[30:31], s[6:7], -v[28:29]
	v_mul_f64 v[66:67], v[8:9], s[34:35]
	v_add_f64 v[40:41], v[105:106], v[40:41]
	v_fma_f64 v[99:100], v[30:31], s[8:9], -v[93:94]
	v_fma_f64 v[28:29], v[30:31], s[6:7], v[28:29]
	v_add_f64 v[30:31], v[56:57], v[60:61]
	v_fma_f64 v[56:57], v[10:11], s[22:23], -v[14:15]
	v_mul_f64 v[60:61], v[8:9], s[26:27]
	v_add_f64 v[62:63], v[64:65], v[62:63]
	v_fma_f64 v[14:15], v[10:11], s[22:23], v[14:15]
	v_add_f64 v[32:33], v[32:33], v[58:59]
	v_fma_f64 v[58:59], v[10:11], s[14:15], -v[66:67]
	v_mul_f64 v[64:65], v[8:9], s[36:37]
	v_add_f64 v[0:1], v[0:1], -v[4:5]
	v_add_f64 v[36:37], v[99:100], v[36:37]
	v_add_f64 v[40:41], v[91:92], v[40:41]
	;; [unrolled: 1-line block ×3, first 2 shown]
	v_fma_f64 v[28:29], v[10:11], s[14:15], v[66:67]
	v_add_f64 v[20:21], v[56:57], v[20:21]
	v_fma_f64 v[56:57], v[10:11], s[6:7], -v[60:61]
	v_add_f64 v[14:15], v[14:15], v[22:23]
	v_fma_f64 v[22:23], v[10:11], s[6:7], v[60:61]
	v_add_f64 v[38:39], v[58:59], v[38:39]
	v_mul_f64 v[58:59], v[8:9], s[16:17]
	v_fma_f64 v[4:5], v[10:11], s[28:29], -v[64:65]
	v_mul_f64 v[8:9], v[8:9], s[20:21]
	v_add_f64 v[2:3], v[6:7], v[2:3]
	v_mul_f64 v[6:7], v[0:1], s[30:31]
	v_add_f64 v[28:29], v[28:29], v[42:43]
	v_add_f64 v[36:37], v[56:57], v[36:37]
	;; [unrolled: 1-line block ×3, first 2 shown]
	v_fma_f64 v[34:35], v[10:11], s[28:29], v[64:65]
	v_fma_f64 v[42:43], v[10:11], s[8:9], -v[58:59]
	v_fma_f64 v[56:57], v[10:11], s[8:9], v[58:59]
	v_add_f64 v[40:41], v[4:5], v[40:41]
	v_fma_f64 v[4:5], v[10:11], s[18:19], -v[8:9]
	v_mul_f64 v[58:59], v[0:1], s[16:17]
	v_fma_f64 v[8:9], v[10:11], s[18:19], v[8:9]
	v_fma_f64 v[10:11], v[2:3], s[28:29], -v[6:7]
	v_fma_f64 v[6:7], v[2:3], s[28:29], v[6:7]
	v_add_f64 v[34:35], v[34:35], v[12:13]
	v_add_f64 v[30:31], v[42:43], v[30:31]
	;; [unrolled: 1-line block ×4, first 2 shown]
	v_fma_f64 v[12:13], v[2:3], s[8:9], -v[58:59]
	v_add_f64 v[56:57], v[8:9], v[18:19]
	v_fma_f64 v[8:9], v[2:3], s[8:9], v[58:59]
	v_mul_f64 v[58:59], v[0:1], s[24:25]
	v_add_f64 v[18:19], v[10:11], v[20:21]
	v_mul_f64 v[20:21], v[0:1], s[38:39]
	v_add_f64 v[4:5], v[6:7], v[14:15]
	v_mul_f64 v[6:7], v[0:1], s[20:21]
	v_mul_f64 v[0:1], v[0:1], s[34:35]
	v_add_f64 v[12:13], v[12:13], v[38:39]
	v_add_f64 v[10:11], v[8:9], v[28:29]
	v_fma_f64 v[8:9], v[2:3], s[22:23], -v[58:59]
	v_fma_f64 v[28:29], v[2:3], s[22:23], v[58:59]
	v_fma_f64 v[38:39], v[2:3], s[6:7], -v[20:21]
	v_fma_f64 v[20:21], v[2:3], s[6:7], v[20:21]
	;; [unrolled: 2-line block ×4, first 2 shown]
	v_add_f64 v[14:15], v[8:9], v[36:37]
	v_add_f64 v[8:9], v[28:29], v[22:23]
	;; [unrolled: 1-line block ×8, first 2 shown]
	s_waitcnt lgkmcnt(0)
	s_barrier
	s_and_saveexec_b64 s[6:7], s[2:3]
	s_cbranch_execz .LBB0_19
; %bb.18:
	s_movk_i32 s2, 0x68
	v_mad_u32_u24 v6, v88, s2, 0
	ds_write2_b64 v6, v[16:17], v[18:19] offset1:1
	ds_write2_b64 v6, v[12:13], v[14:15] offset0:2 offset1:3
	ds_write2_b64 v6, v[28:29], v[30:31] offset0:4 offset1:5
	;; [unrolled: 1-line block ×5, first 2 shown]
	ds_write_b64 v6, v[4:5] offset:96
.LBB0_19:
	s_or_b64 exec, exec, s[6:7]
	s_waitcnt lgkmcnt(0)
	s_barrier
	s_waitcnt lgkmcnt(0)
                                        ; implicit-def: $vgpr32_vgpr33
	s_and_saveexec_b64 s[2:3], s[0:1]
	s_cbranch_execz .LBB0_21
; %bb.20:
	v_add_u32_e32 v0, 0x800, v90
	v_add_u32_e32 v4, 0x1000, v90
	;; [unrolled: 1-line block ×3, first 2 shown]
	ds_read2_b64 v[16:19], v90 offset1:65
	ds_read2_b64 v[12:15], v90 offset0:130 offset1:195
	ds_read2_b64 v[28:31], v0 offset0:4 offset1:69
	;; [unrolled: 1-line block ×7, first 2 shown]
.LBB0_21:
	s_or_b64 exec, exec, s[2:3]
	s_movk_i32 s2, 0x4f
	v_mul_lo_u16_sdwa v36, v88, s2 dst_sel:DWORD dst_unused:UNUSED_PAD src0_sel:BYTE_0 src1_sel:DWORD
	v_lshrrev_b16_e32 v91, 10, v36
	v_mul_lo_u16_e32 v36, 13, v91
	v_sub_u16_e32 v92, v88, v36
	v_mov_b32_e32 v36, 15
	v_mul_u32_u24_sdwa v36, v92, v36 dst_sel:DWORD dst_unused:UNUSED_PAD src0_sel:BYTE_0 src1_sel:DWORD
	v_lshlrev_b32_e32 v129, 4, v36
	global_load_dwordx4 v[36:39], v129, s[12:13] offset:16
	global_load_dwordx4 v[40:43], v129, s[12:13] offset:32
	;; [unrolled: 1-line block ×6, first 2 shown]
	global_load_dwordx4 v[97:100], v129, s[12:13]
	global_load_dwordx4 v[101:104], v129, s[12:13] offset:128
	global_load_dwordx4 v[105:108], v129, s[12:13] offset:144
	;; [unrolled: 1-line block ×4, first 2 shown]
	s_mov_b32 s2, 0x667f3bcd
	s_mov_b32 s3, 0x3fe6a09e
	;; [unrolled: 1-line block ×4, first 2 shown]
	s_waitcnt vmcnt(10) lgkmcnt(6)
	v_mul_f64 v[117:118], v[12:13], v[38:39]
	v_mul_f64 v[38:39], v[44:45], v[38:39]
	s_waitcnt vmcnt(9)
	v_mul_f64 v[119:120], v[14:15], v[42:43]
	v_mul_f64 v[121:122], v[46:47], v[42:43]
	v_fma_f64 v[123:124], v[44:45], v[36:37], v[117:118]
	v_fma_f64 v[125:126], v[12:13], v[36:37], -v[38:39]
	global_load_dwordx4 v[36:39], v129, s[12:13] offset:192
	v_fma_f64 v[127:128], v[46:47], v[40:41], v[119:120]
	global_load_dwordx4 v[42:45], v129, s[12:13] offset:208
	global_load_dwordx4 v[117:120], v129, s[12:13] offset:224
	v_fma_f64 v[40:41], v[14:15], v[40:41], -v[121:122]
	s_waitcnt vmcnt(11) lgkmcnt(5)
	v_mul_f64 v[12:13], v[28:29], v[58:59]
	v_mul_f64 v[14:15], v[68:69], v[58:59]
	s_waitcnt vmcnt(10)
	v_mul_f64 v[58:59], v[30:31], v[62:63]
	v_fma_f64 v[46:47], v[68:69], v[56:57], v[12:13]
	v_fma_f64 v[28:29], v[28:29], v[56:57], -v[14:15]
	v_mul_f64 v[56:57], v[70:71], v[62:63]
	s_waitcnt vmcnt(9) lgkmcnt(4)
	v_mul_f64 v[62:63], v[20:21], v[66:67]
	v_mul_f64 v[66:67], v[76:77], v[66:67]
	global_load_dwordx4 v[12:15], v129, s[12:13] offset:112
	v_fma_f64 v[58:59], v[70:71], v[60:61], v[58:59]
	s_waitcnt vmcnt(8)
	v_mul_f64 v[68:69], v[54:55], v[99:100]
	v_mul_f64 v[70:71], v[78:79], v[95:96]
	s_waitcnt lgkmcnt(0)
	v_fma_f64 v[30:31], v[30:31], v[60:61], -v[56:57]
	v_mul_f64 v[56:57], v[22:23], v[95:96]
	v_mul_f64 v[60:61], v[18:19], v[99:100]
	v_fma_f64 v[62:63], v[76:77], v[64:65], v[62:63]
	v_fma_f64 v[64:65], v[20:21], v[64:65], -v[66:67]
	s_waitcnt vmcnt(7)
	v_mul_f64 v[20:21], v[2:3], v[103:104]
	v_mul_f64 v[66:67], v[26:27], v[103:104]
	s_waitcnt vmcnt(6)
	v_mul_f64 v[76:77], v[8:9], v[107:108]
	v_fma_f64 v[70:71], v[22:23], v[93:94], -v[70:71]
	v_fma_f64 v[56:57], v[78:79], v[93:94], v[56:57]
	v_mul_f64 v[78:79], v[48:49], v[107:108]
	s_waitcnt vmcnt(5)
	v_mul_f64 v[22:23], v[10:11], v[111:112]
	v_mul_f64 v[93:94], v[50:51], v[111:112]
	s_waitcnt vmcnt(4)
	v_mul_f64 v[95:96], v[4:5], v[115:116]
	v_mul_f64 v[99:100], v[72:73], v[115:116]
	v_fma_f64 v[54:55], v[54:55], v[97:98], v[60:61]
	v_fma_f64 v[60:61], v[18:19], v[97:98], -v[68:69]
	v_fma_f64 v[26:27], v[26:27], v[101:102], v[20:21]
	v_fma_f64 v[2:3], v[2:3], v[101:102], -v[66:67]
	;; [unrolled: 2-line block ×5, first 2 shown]
	v_add_f64 v[26:27], v[54:55], -v[26:27]
	s_waitcnt vmcnt(0)
	s_barrier
	v_add_f64 v[8:9], v[125:126], -v[8:9]
	v_add_f64 v[10:11], v[40:41], -v[10:11]
	v_fma_f64 v[54:55], v[54:55], 2.0, -v[26:27]
	v_mul_f64 v[18:19], v[6:7], v[38:39]
	v_mul_f64 v[38:39], v[74:75], v[38:39]
	;; [unrolled: 1-line block ×6, first 2 shown]
	v_fma_f64 v[72:73], v[74:75], v[36:37], v[18:19]
	v_fma_f64 v[6:7], v[6:7], v[36:37], -v[38:39]
	v_fma_f64 v[36:37], v[80:81], v[42:43], v[20:21]
	v_fma_f64 v[32:33], v[32:33], v[42:43], -v[44:45]
	;; [unrolled: 2-line block ×3, first 2 shown]
	v_add_f64 v[20:21], v[28:29], -v[4:5]
	v_add_f64 v[4:5], v[123:124], -v[48:49]
	;; [unrolled: 1-line block ×11, first 2 shown]
	v_fma_f64 v[2:3], v[123:124], 2.0, -v[4:5]
	v_fma_f64 v[22:23], v[125:126], 2.0, -v[8:9]
	;; [unrolled: 1-line block ×11, first 2 shown]
	v_add_f64 v[36:37], v[8:9], -v[36:37]
	v_add_f64 v[6:7], v[26:27], v[6:7]
	v_add_f64 v[44:45], v[42:43], -v[44:45]
	v_add_f64 v[34:35], v[48:49], v[34:35]
	;; [unrolled: 2-line block ×3, first 2 shown]
	v_add_f64 v[32:33], v[2:3], -v[50:51]
	v_add_f64 v[40:41], v[22:23], -v[62:63]
	v_fma_f64 v[8:9], v[8:9], 2.0, -v[36:37]
	v_add_f64 v[62:63], v[54:55], -v[58:59]
	v_add_f64 v[30:31], v[60:61], -v[30:31]
	v_add_f64 v[50:51], v[64:65], -v[56:57]
	v_add_f64 v[56:57], v[66:67], -v[68:69]
	v_fma_f64 v[74:75], v[26:27], 2.0, -v[6:7]
	v_fma_f64 v[42:43], v[42:43], 2.0, -v[44:45]
	;; [unrolled: 1-line block ×9, first 2 shown]
	v_mul_f64 v[66:67], v[8:9], s[2:3]
	v_fma_f64 v[8:9], v[26:27], s[6:7], v[74:75]
	v_fma_f64 v[64:65], v[10:11], s[6:7], v[42:43]
	;; [unrolled: 1-line block ×4, first 2 shown]
	v_add_f64 v[80:81], v[62:63], v[56:57]
	v_add_f64 v[82:83], v[30:31], -v[50:51]
	v_mul_f64 v[58:59], v[38:39], s[2:3]
	v_mul_f64 v[68:69], v[70:71], s[2:3]
	v_fma_f64 v[38:39], v[10:11], s[2:3], v[8:9]
	v_fma_f64 v[50:51], v[26:27], s[6:7], v[64:65]
	;; [unrolled: 1-line block ×4, first 2 shown]
	v_fma_f64 v[8:9], v[62:63], 2.0, -v[80:81]
	v_fma_f64 v[10:11], v[30:31], 2.0, -v[82:83]
	v_mul_f64 v[70:71], v[36:37], s[2:3]
	v_add_f64 v[36:37], v[4:5], -v[54:55]
	v_add_f64 v[72:73], v[48:49], -v[60:61]
	v_fma_f64 v[30:31], v[74:75], 2.0, -v[38:39]
	v_fma_f64 v[54:55], v[42:43], 2.0, -v[50:51]
	;; [unrolled: 1-line block ×4, first 2 shown]
	v_mul_f64 v[42:43], v[8:9], s[2:3]
	v_mul_f64 v[60:61], v[10:11], s[2:3]
	;; [unrolled: 1-line block ×4, first 2 shown]
	s_and_saveexec_b64 s[2:3], s[0:1]
	s_cbranch_execz .LBB0_23
; %bb.22:
	v_mul_f64 v[6:7], v[0:1], v[14:15]
	v_fma_f64 v[10:11], v[46:47], 2.0, -v[18:19]
	v_fma_f64 v[2:3], v[2:3], 2.0, -v[32:33]
	s_mov_b32 s8, 0xa6aea964
	s_mov_b32 s9, 0x3fd87de2
	;; [unrolled: 1-line block ×5, first 2 shown]
	v_fma_f64 v[6:7], v[24:25], v[12:13], v[6:7]
	s_mov_b32 s6, 0xcf328d46
	v_fma_f64 v[4:5], v[4:5], 2.0, -v[36:37]
	v_mul_u32_u24_e32 v101, 0xd0, v91
	v_or_b32_sdwa v101, v101, v92 dst_sel:DWORD dst_unused:UNUSED_PAD src0_sel:DWORD src1_sel:BYTE_0
	v_lshl_add_u32 v101, v101, 3, 0
	v_add_f64 v[6:7], v[52:53], -v[6:7]
	v_add_f64 v[8:9], v[6:7], v[20:21]
	v_fma_f64 v[46:47], v[52:53], 2.0, -v[6:7]
	v_fma_f64 v[6:7], v[6:7], 2.0, -v[8:9]
	v_add_f64 v[52:53], v[8:9], v[68:69]
	v_add_f64 v[10:11], v[46:47], -v[10:11]
	v_add_f64 v[74:75], v[6:7], -v[58:59]
	v_add_f64 v[52:53], v[70:71], v[52:53]
	v_add_f64 v[76:77], v[10:11], v[40:41]
	v_fma_f64 v[46:47], v[46:47], 2.0, -v[10:11]
	v_add_f64 v[74:75], v[66:67], v[74:75]
	v_fma_f64 v[8:9], v[8:9], 2.0, -v[52:53]
	v_fma_f64 v[10:11], v[10:11], 2.0, -v[76:77]
	v_add_f64 v[2:3], v[46:47], -v[2:3]
	v_fma_f64 v[82:83], v[26:27], s[6:7], v[52:53]
	v_add_f64 v[93:94], v[76:77], v[44:45]
	v_fma_f64 v[78:79], v[38:39], s[8:9], v[74:75]
	v_fma_f64 v[80:81], v[56:57], s[14:15], v[8:9]
	v_fma_f64 v[6:7], v[6:7], 2.0, -v[74:75]
	v_add_f64 v[95:96], v[10:11], -v[42:43]
	v_fma_f64 v[46:47], v[46:47], 2.0, -v[2:3]
	v_fma_f64 v[82:83], v[34:35], s[8:9], v[82:83]
	v_add_f64 v[93:94], v[62:63], v[93:94]
	v_add_f64 v[99:100], v[2:3], v[72:73]
	v_fma_f64 v[78:79], v[50:51], s[6:7], v[78:79]
	v_fma_f64 v[80:81], v[64:65], s[6:7], v[80:81]
	s_mov_b32 s7, 0xbfed906b
	v_fma_f64 v[97:98], v[30:31], s[6:7], v[6:7]
	v_add_f64 v[95:96], v[60:61], v[95:96]
	v_add_f64 v[4:5], v[46:47], -v[4:5]
	v_fma_f64 v[52:53], v[52:53], 2.0, -v[82:83]
	v_fma_f64 v[76:77], v[76:77], 2.0, -v[93:94]
	;; [unrolled: 1-line block ×5, first 2 shown]
	v_fma_f64 v[97:98], v[54:55], s[8:9], v[97:98]
	v_fma_f64 v[10:11], v[10:11], 2.0, -v[95:96]
	v_fma_f64 v[46:47], v[46:47], 2.0, -v[4:5]
	;; [unrolled: 1-line block ×3, first 2 shown]
	ds_write2_b64 v101, v[76:77], v[52:53] offset0:78 offset1:91
	ds_write2_b64 v101, v[95:96], v[80:81] offset0:130 offset1:143
	;; [unrolled: 1-line block ×6, first 2 shown]
	ds_write2_b64 v101, v[46:47], v[6:7] offset1:13
	ds_write2_b64 v101, v[93:94], v[82:83] offset0:182 offset1:195
.LBB0_23:
	s_or_b64 exec, exec, s[2:3]
	v_add_u32_e32 v6, 0xc00, v90
	s_waitcnt lgkmcnt(0)
	s_barrier
	ds_read2_b64 v[2:5], v90 offset1:208
	ds_read2_b64 v[6:9], v6 offset0:32 offset1:240
	ds_read_b64 v[10:11], v90 offset:6656
	s_waitcnt lgkmcnt(0)
	s_barrier
	s_and_saveexec_b64 s[2:3], s[0:1]
	s_cbranch_execz .LBB0_25
; %bb.24:
	v_mul_f64 v[14:15], v[24:25], v[14:15]
	v_fma_f64 v[22:23], v[22:23], 2.0, -v[40:41]
	s_mov_b32 s0, 0xa6aea964
	s_mov_b32 s1, 0xbfd87de2
	;; [unrolled: 1-line block ×4, first 2 shown]
	v_fma_f64 v[24:25], v[48:49], 2.0, -v[72:73]
	v_fma_f64 v[0:1], v[0:1], v[12:13], -v[14:15]
	v_fma_f64 v[14:15], v[28:29], 2.0, -v[20:21]
	v_add_f64 v[0:1], v[16:17], -v[0:1]
	v_add_f64 v[12:13], v[0:1], -v[18:19]
	v_fma_f64 v[16:17], v[16:17], 2.0, -v[0:1]
	v_fma_f64 v[0:1], v[0:1], 2.0, -v[12:13]
	v_add_f64 v[18:19], v[12:13], v[70:71]
	v_add_f64 v[14:15], v[16:17], -v[14:15]
	v_add_f64 v[20:21], v[0:1], -v[66:67]
	;; [unrolled: 1-line block ×4, first 2 shown]
	v_fma_f64 v[16:17], v[16:17], 2.0, -v[14:15]
	v_add_f64 v[20:21], v[20:21], -v[58:59]
	v_fma_f64 v[12:13], v[12:13], 2.0, -v[18:19]
	v_fma_f64 v[14:15], v[14:15], 2.0, -v[28:29]
	v_add_f64 v[22:23], v[16:17], -v[22:23]
	v_add_f64 v[46:47], v[28:29], v[62:63]
	v_fma_f64 v[0:1], v[0:1], 2.0, -v[20:21]
	v_fma_f64 v[32:33], v[64:65], s[0:1], v[12:13]
	v_fma_f64 v[40:41], v[50:51], s[6:7], v[20:21]
	v_add_f64 v[48:49], v[14:15], -v[60:61]
	s_mov_b32 s7, 0xbfed906b
	s_mov_b32 s6, 0xcf328d46
	v_fma_f64 v[16:17], v[16:17], 2.0, -v[22:23]
	v_add_f64 v[36:37], v[22:23], -v[36:37]
	v_fma_f64 v[50:51], v[54:55], s[6:7], v[0:1]
	v_fma_f64 v[32:33], v[56:57], s[6:7], v[32:33]
	v_fma_f64 v[38:39], v[38:39], s[6:7], v[40:41]
	s_mov_b32 s7, 0x3fed906b
	v_fma_f64 v[34:35], v[34:35], s[6:7], v[18:19]
	v_add_f64 v[42:43], v[48:49], -v[42:43]
	v_add_f64 v[24:25], v[16:17], -v[24:25]
	;; [unrolled: 1-line block ×3, first 2 shown]
	v_fma_f64 v[30:31], v[30:31], s[0:1], v[50:51]
	v_fma_f64 v[12:13], v[12:13], 2.0, -v[32:33]
	v_fma_f64 v[22:23], v[22:23], 2.0, -v[36:37]
	;; [unrolled: 1-line block ×3, first 2 shown]
	v_fma_f64 v[26:27], v[26:27], s[0:1], v[34:35]
	v_fma_f64 v[14:15], v[14:15], 2.0, -v[42:43]
	v_mul_u32_u24_e32 v44, 0xd0, v91
	v_fma_f64 v[16:17], v[16:17], 2.0, -v[24:25]
	v_fma_f64 v[0:1], v[0:1], 2.0, -v[30:31]
	v_or_b32_sdwa v44, v44, v92 dst_sel:DWORD dst_unused:UNUSED_PAD src0_sel:DWORD src1_sel:BYTE_0
	v_fma_f64 v[28:29], v[28:29], 2.0, -v[40:41]
	v_lshl_add_u32 v34, v44, 3, 0
	v_fma_f64 v[18:19], v[18:19], 2.0, -v[26:27]
	ds_write2_b64 v34, v[42:43], v[32:33] offset0:130 offset1:143
	ds_write2_b64 v34, v[36:37], v[38:39] offset0:156 offset1:169
	;; [unrolled: 1-line block ×5, first 2 shown]
	ds_write2_b64 v34, v[16:17], v[0:1] offset1:13
	ds_write2_b64 v34, v[28:29], v[18:19] offset0:78 offset1:91
	ds_write2_b64 v34, v[40:41], v[26:27] offset0:182 offset1:195
.LBB0_25:
	s_or_b64 exec, exec, s[2:3]
	s_waitcnt lgkmcnt(0)
	s_barrier
	s_and_saveexec_b64 s[0:1], vcc
	s_cbranch_execz .LBB0_27
; %bb.26:
	v_lshlrev_b32_e32 v0, 2, v88
	v_mov_b32_e32 v1, 0
	v_lshlrev_b64 v[12:13], 4, v[0:1]
	v_mov_b32_e32 v0, s13
	v_add_co_u32_e32 v28, vcc, s12, v12
	v_addc_co_u32_e32 v29, vcc, v0, v13, vcc
	global_load_dwordx4 v[12:15], v[28:29], off offset:3136
	global_load_dwordx4 v[16:19], v[28:29], off offset:3120
	;; [unrolled: 1-line block ×4, first 2 shown]
	v_mul_lo_u32 v42, s5, v86
	v_mul_lo_u32 v43, s4, v87
	v_mad_u64_u32 v[36:37], s[0:1], s4, v86, 0
	v_add_u32_e32 v0, 0xc00, v90
	ds_read2_b64 v[28:31], v90 offset1:208
	ds_read_b64 v[38:39], v90 offset:6656
	v_add3_u32 v37, v37, v43, v42
	v_lshlrev_b64 v[36:37], 4, v[36:37]
	v_mov_b32_e32 v44, s11
	v_lshlrev_b64 v[40:41], 4, v[84:85]
	ds_read2_b64 v[32:35], v0 offset0:32 offset1:240
	v_add_co_u32_e32 v36, vcc, s10, v36
	v_mov_b32_e32 v90, v1
	v_addc_co_u32_e32 v37, vcc, v44, v37, vcc
	v_lshlrev_b64 v[0:1], 4, v[89:90]
	v_add_co_u32_e32 v36, vcc, v36, v40
	v_addc_co_u32_e32 v37, vcc, v37, v41, vcc
	v_add_co_u32_e32 v36, vcc, v36, v0
	v_addc_co_u32_e32 v37, vcc, v37, v1, vcc
	s_mov_b32 s2, 0x134454ff
	s_mov_b32 s3, 0x3fee6f0e
	;; [unrolled: 1-line block ×10, first 2 shown]
	s_movk_i32 s11, 0x1000
	v_add_co_u32_e32 v40, vcc, s11, v36
	v_addc_co_u32_e32 v41, vcc, 0, v37, vcc
	v_add_co_u32_e32 v42, vcc, 0x2000, v36
	s_waitcnt vmcnt(3)
	v_mul_f64 v[0:1], v[6:7], v[14:15]
	s_waitcnt vmcnt(2)
	v_mul_f64 v[43:44], v[4:5], v[18:19]
	;; [unrolled: 2-line block ×4, first 2 shown]
	s_waitcnt lgkmcnt(0)
	v_mul_f64 v[14:15], v[32:33], v[14:15]
	v_mul_f64 v[22:23], v[34:35], v[22:23]
	;; [unrolled: 1-line block ×4, first 2 shown]
	v_fma_f64 v[0:1], v[32:33], v[12:13], -v[0:1]
	v_fma_f64 v[30:31], v[30:31], v[16:17], -v[43:44]
	;; [unrolled: 1-line block ×4, first 2 shown]
	v_fma_f64 v[6:7], v[6:7], v[12:13], v[14:15]
	v_fma_f64 v[8:9], v[8:9], v[20:21], v[22:23]
	v_fma_f64 v[4:5], v[4:5], v[16:17], v[18:19]
	v_fma_f64 v[10:11], v[10:11], v[24:25], v[26:27]
	v_addc_co_u32_e32 v43, vcc, 0, v37, vcc
	v_add_f64 v[12:13], v[0:1], -v[30:31]
	v_add_f64 v[14:15], v[32:33], -v[34:35]
	v_add_f64 v[18:19], v[30:31], v[34:35]
	v_add_f64 v[23:24], v[30:31], -v[0:1]
	v_add_f64 v[25:26], v[34:35], -v[32:33]
	v_add_f64 v[38:39], v[0:1], v[32:33]
	v_add_f64 v[50:51], v[4:5], v[10:11]
	;; [unrolled: 1-line block ×4, first 2 shown]
	v_add_f64 v[21:22], v[4:5], -v[10:11]
	v_add_f64 v[46:47], v[6:7], -v[4:5]
	;; [unrolled: 1-line block ×3, first 2 shown]
	v_add_f64 v[4:5], v[2:3], v[4:5]
	v_add_f64 v[16:17], v[6:7], -v[8:9]
	v_add_f64 v[48:49], v[8:9], -v[10:11]
	;; [unrolled: 1-line block ×3, first 2 shown]
	v_add_f64 v[12:13], v[12:13], v[14:15]
	v_fma_f64 v[14:15], v[18:19], -0.5, v[28:29]
	v_add_f64 v[18:19], v[23:24], v[25:26]
	v_fma_f64 v[23:24], v[38:39], -0.5, v[28:29]
	v_fma_f64 v[27:28], v[50:51], -0.5, v[2:3]
	;; [unrolled: 1-line block ×3, first 2 shown]
	v_add_f64 v[52:53], v[0:1], -v[32:33]
	v_add_f64 v[0:1], v[0:1], v[44:45]
	v_add_f64 v[4:5], v[6:7], v[4:5]
	v_add_f64 v[56:57], v[10:11], -v[8:9]
	v_add_f64 v[25:26], v[46:47], v[48:49]
	v_fma_f64 v[6:7], v[16:17], s[2:3], v[14:15]
	v_fma_f64 v[14:15], v[16:17], s[8:9], v[14:15]
	v_fma_f64 v[44:45], v[21:22], s[8:9], v[23:24]
	v_fma_f64 v[23:24], v[21:22], s[2:3], v[23:24]
	v_fma_f64 v[48:49], v[30:31], s[8:9], v[2:3]
	v_add_f64 v[0:1], v[32:33], v[0:1]
	v_fma_f64 v[32:33], v[52:53], s[8:9], v[27:28]
	v_fma_f64 v[27:28], v[52:53], s[2:3], v[27:28]
	;; [unrolled: 1-line block ×3, first 2 shown]
	v_add_f64 v[4:5], v[4:5], v[8:9]
	v_add_f64 v[38:39], v[54:55], v[56:57]
	v_fma_f64 v[8:9], v[21:22], s[6:7], v[14:15]
	v_fma_f64 v[14:15], v[16:17], s[4:5], v[44:45]
	v_fma_f64 v[16:17], v[16:17], s[6:7], v[23:24]
	v_fma_f64 v[23:24], v[52:53], s[4:5], v[48:49]
	v_fma_f64 v[27:28], v[30:31], s[4:5], v[27:28]
	v_fma_f64 v[6:7], v[21:22], s[4:5], v[6:7]
	v_fma_f64 v[21:22], v[30:31], s[6:7], v[32:33]
	v_fma_f64 v[29:30], v[52:53], s[6:7], v[46:47]
	v_add_f64 v[2:3], v[34:35], v[0:1]
	v_add_f64 v[0:1], v[4:5], v[10:11]
	v_fma_f64 v[14:15], v[18:19], s[0:1], v[14:15]
	v_fma_f64 v[18:19], v[18:19], s[0:1], v[16:17]
	;; [unrolled: 1-line block ×8, first 2 shown]
	v_add_co_u32_e32 v20, vcc, 0x3000, v36
	v_addc_co_u32_e32 v21, vcc, 0, v37, vcc
	global_store_dwordx4 v[36:37], v[0:3], off
	global_store_dwordx4 v[36:37], v[16:19], off offset:3328
	global_store_dwordx4 v[40:41], v[8:11], off offset:2560
	;; [unrolled: 1-line block ×4, first 2 shown]
.LBB0_27:
	s_endpgm
	.section	.rodata,"a",@progbits
	.p2align	6, 0x0
	.amdhsa_kernel fft_rtc_back_len1040_factors_13_16_5_wgs_208_tpt_208_halfLds_dp_op_CI_CI_unitstride_sbrr_dirReg
		.amdhsa_group_segment_fixed_size 0
		.amdhsa_private_segment_fixed_size 0
		.amdhsa_kernarg_size 104
		.amdhsa_user_sgpr_count 6
		.amdhsa_user_sgpr_private_segment_buffer 1
		.amdhsa_user_sgpr_dispatch_ptr 0
		.amdhsa_user_sgpr_queue_ptr 0
		.amdhsa_user_sgpr_kernarg_segment_ptr 1
		.amdhsa_user_sgpr_dispatch_id 0
		.amdhsa_user_sgpr_flat_scratch_init 0
		.amdhsa_user_sgpr_private_segment_size 0
		.amdhsa_uses_dynamic_stack 0
		.amdhsa_system_sgpr_private_segment_wavefront_offset 0
		.amdhsa_system_sgpr_workgroup_id_x 1
		.amdhsa_system_sgpr_workgroup_id_y 0
		.amdhsa_system_sgpr_workgroup_id_z 0
		.amdhsa_system_sgpr_workgroup_info 0
		.amdhsa_system_vgpr_workitem_id 0
		.amdhsa_next_free_vgpr 130
		.amdhsa_next_free_sgpr 42
		.amdhsa_reserve_vcc 1
		.amdhsa_reserve_flat_scratch 0
		.amdhsa_float_round_mode_32 0
		.amdhsa_float_round_mode_16_64 0
		.amdhsa_float_denorm_mode_32 3
		.amdhsa_float_denorm_mode_16_64 3
		.amdhsa_dx10_clamp 1
		.amdhsa_ieee_mode 1
		.amdhsa_fp16_overflow 0
		.amdhsa_exception_fp_ieee_invalid_op 0
		.amdhsa_exception_fp_denorm_src 0
		.amdhsa_exception_fp_ieee_div_zero 0
		.amdhsa_exception_fp_ieee_overflow 0
		.amdhsa_exception_fp_ieee_underflow 0
		.amdhsa_exception_fp_ieee_inexact 0
		.amdhsa_exception_int_div_zero 0
	.end_amdhsa_kernel
	.text
.Lfunc_end0:
	.size	fft_rtc_back_len1040_factors_13_16_5_wgs_208_tpt_208_halfLds_dp_op_CI_CI_unitstride_sbrr_dirReg, .Lfunc_end0-fft_rtc_back_len1040_factors_13_16_5_wgs_208_tpt_208_halfLds_dp_op_CI_CI_unitstride_sbrr_dirReg
                                        ; -- End function
	.section	.AMDGPU.csdata,"",@progbits
; Kernel info:
; codeLenInByte = 9000
; NumSgprs: 46
; NumVgprs: 130
; ScratchSize: 0
; MemoryBound: 1
; FloatMode: 240
; IeeeMode: 1
; LDSByteSize: 0 bytes/workgroup (compile time only)
; SGPRBlocks: 5
; VGPRBlocks: 32
; NumSGPRsForWavesPerEU: 46
; NumVGPRsForWavesPerEU: 130
; Occupancy: 1
; WaveLimiterHint : 1
; COMPUTE_PGM_RSRC2:SCRATCH_EN: 0
; COMPUTE_PGM_RSRC2:USER_SGPR: 6
; COMPUTE_PGM_RSRC2:TRAP_HANDLER: 0
; COMPUTE_PGM_RSRC2:TGID_X_EN: 1
; COMPUTE_PGM_RSRC2:TGID_Y_EN: 0
; COMPUTE_PGM_RSRC2:TGID_Z_EN: 0
; COMPUTE_PGM_RSRC2:TIDIG_COMP_CNT: 0
	.type	__hip_cuid_974b16d48a5e14a7,@object ; @__hip_cuid_974b16d48a5e14a7
	.section	.bss,"aw",@nobits
	.globl	__hip_cuid_974b16d48a5e14a7
__hip_cuid_974b16d48a5e14a7:
	.byte	0                               ; 0x0
	.size	__hip_cuid_974b16d48a5e14a7, 1

	.ident	"AMD clang version 19.0.0git (https://github.com/RadeonOpenCompute/llvm-project roc-6.4.0 25133 c7fe45cf4b819c5991fe208aaa96edf142730f1d)"
	.section	".note.GNU-stack","",@progbits
	.addrsig
	.addrsig_sym __hip_cuid_974b16d48a5e14a7
	.amdgpu_metadata
---
amdhsa.kernels:
  - .args:
      - .actual_access:  read_only
        .address_space:  global
        .offset:         0
        .size:           8
        .value_kind:     global_buffer
      - .offset:         8
        .size:           8
        .value_kind:     by_value
      - .actual_access:  read_only
        .address_space:  global
        .offset:         16
        .size:           8
        .value_kind:     global_buffer
      - .actual_access:  read_only
        .address_space:  global
        .offset:         24
        .size:           8
        .value_kind:     global_buffer
      - .actual_access:  read_only
        .address_space:  global
        .offset:         32
        .size:           8
        .value_kind:     global_buffer
      - .offset:         40
        .size:           8
        .value_kind:     by_value
      - .actual_access:  read_only
        .address_space:  global
        .offset:         48
        .size:           8
        .value_kind:     global_buffer
      - .actual_access:  read_only
        .address_space:  global
        .offset:         56
        .size:           8
        .value_kind:     global_buffer
      - .offset:         64
        .size:           4
        .value_kind:     by_value
      - .actual_access:  read_only
        .address_space:  global
        .offset:         72
        .size:           8
        .value_kind:     global_buffer
      - .actual_access:  read_only
        .address_space:  global
        .offset:         80
        .size:           8
        .value_kind:     global_buffer
      - .actual_access:  read_only
        .address_space:  global
        .offset:         88
        .size:           8
        .value_kind:     global_buffer
      - .actual_access:  write_only
        .address_space:  global
        .offset:         96
        .size:           8
        .value_kind:     global_buffer
    .group_segment_fixed_size: 0
    .kernarg_segment_align: 8
    .kernarg_segment_size: 104
    .language:       OpenCL C
    .language_version:
      - 2
      - 0
    .max_flat_workgroup_size: 208
    .name:           fft_rtc_back_len1040_factors_13_16_5_wgs_208_tpt_208_halfLds_dp_op_CI_CI_unitstride_sbrr_dirReg
    .private_segment_fixed_size: 0
    .sgpr_count:     46
    .sgpr_spill_count: 0
    .symbol:         fft_rtc_back_len1040_factors_13_16_5_wgs_208_tpt_208_halfLds_dp_op_CI_CI_unitstride_sbrr_dirReg.kd
    .uniform_work_group_size: 1
    .uses_dynamic_stack: false
    .vgpr_count:     130
    .vgpr_spill_count: 0
    .wavefront_size: 64
amdhsa.target:   amdgcn-amd-amdhsa--gfx906
amdhsa.version:
  - 1
  - 2
...

	.end_amdgpu_metadata
